;; amdgpu-corpus repo=zjin-lcf/HeCBench kind=compiled arch=gfx906 opt=O3
	.amdgcn_target "amdgcn-amd-amdhsa--gfx906"
	.amdhsa_code_object_version 6
	.text
	.protected	_Z11elementwiseiiPKfS0_S0_PfS1_S1_S0_S1_ ; -- Begin function _Z11elementwiseiiPKfS0_S0_PfS1_S1_S0_S1_
	.globl	_Z11elementwiseiiPKfS0_S0_PfS1_S1_S0_S1_
	.p2align	8
	.type	_Z11elementwiseiiPKfS0_S0_PfS1_S1_S0_S1_,@function
_Z11elementwiseiiPKfS0_S0_PfS1_S1_S0_S1_: ; @_Z11elementwiseiiPKfS0_S0_PfS1_S1_S0_S1_
; %bb.0:
	s_load_dword s0, s[4:5], 0x54
	s_load_dwordx2 s[16:17], s[4:5], 0x0
	s_waitcnt lgkmcnt(0)
	s_and_b32 s0, s0, 0xffff
	s_mul_i32 s6, s6, s0
	v_add_u32_e32 v0, s6, v0
	s_mul_i32 s0, s17, s16
	v_cmp_gt_i32_e32 vcc, s0, v0
	s_and_saveexec_b64 s[0:1], vcc
	s_cbranch_execz .LBB0_10
; %bb.1:
	s_abs_i32 s6, s16
	v_cvt_f32_u32_e32 v3, s6
	s_sub_i32 s7, 0, s6
	v_sub_u32_e32 v2, 0, v0
	v_max_i32_e32 v2, v0, v2
	v_rcp_iflag_f32_e32 v3, v3
	v_xor_b32_e32 v1, s16, v0
	v_ashrrev_i32_e32 v1, 31, v1
	s_load_dwordx4 s[0:3], s[4:5], 0x38
	s_load_dwordx8 s[8:15], s[4:5], 0x8
	v_mul_f32_e32 v3, 0x4f7ffffe, v3
	v_cvt_u32_f32_e32 v3, v3
	s_ashr_i32 s17, s16, 31
	v_mul_lo_u32 v4, s7, v3
	v_mul_hi_u32 v4, v3, v4
	v_add_u32_e32 v3, v3, v4
	v_mul_hi_u32 v3, v2, v3
	v_mul_lo_u32 v4, v3, s6
	v_sub_u32_e32 v2, v2, v4
	v_cmp_le_u32_e32 vcc, s6, v2
	v_add_u32_e32 v4, 1, v3
	v_cndmask_b32_e32 v3, v3, v4, vcc
	v_subrev_u32_e32 v4, s6, v2
	v_cndmask_b32_e32 v2, v2, v4, vcc
	v_cmp_le_u32_e32 vcc, s6, v2
	v_add_u32_e32 v2, 1, v3
	v_cndmask_b32_e32 v2, v3, v2, vcc
	v_xor_b32_e32 v2, v2, v1
	v_sub_u32_e32 v1, v2, v1
	v_mul_lo_u32 v2, v1, s16
	s_lshl_b32 s6, s16, 2
	s_waitcnt lgkmcnt(0)
	v_mov_b32_e32 v3, s9
	s_ashr_i32 s7, s6, 31
	v_sub_u32_e32 v4, v0, v2
	v_mad_u64_u32 v[1:2], s[18:19], s6, v1, v[4:5]
	v_ashrrev_i32_e32 v5, 31, v4
	s_lshl_b64 s[18:19], s[6:7], 2
	v_ashrrev_i32_e32 v2, 31, v1
	v_lshlrev_b64 v[6:7], 2, v[1:2]
	v_mov_b32_e32 v2, s11
	v_add_co_u32_e32 v8, vcc, s10, v6
	v_addc_co_u32_e32 v9, vcc, v2, v7, vcc
	v_add_co_u32_e32 v10, vcc, s8, v6
	v_addc_co_u32_e32 v11, vcc, v3, v7, vcc
	global_load_dword v2, v[8:9], off
	global_load_dword v3, v[10:11], off
	s_add_i32 s7, s6, s16
	s_waitcnt vmcnt(0)
	v_add_f32_e32 v14, v2, v3
	v_lshlrev_b64 v[2:3], 2, v[4:5]
	v_add_co_u32_e32 v12, vcc, s12, v2
	v_mov_b32_e32 v2, s13
	v_addc_co_u32_e32 v13, vcc, v2, v3, vcc
	v_add_co_u32_e32 v2, vcc, s18, v12
	v_mov_b32_e32 v3, s19
	v_addc_co_u32_e32 v3, vcc, v13, v3, vcc
	global_load_dword v5, v[12:13], off
	s_lshl_b64 s[18:19], s[16:17], 2
	global_load_dword v2, v[2:3], off
	s_waitcnt vmcnt(0)
	v_add_f32_e32 v2, v5, v2
	v_add_f32_e32 v3, v14, v2
	v_add_co_u32_e32 v5, vcc, s14, v6
	v_mov_b32_e32 v2, s15
	v_addc_co_u32_e32 v6, vcc, v2, v7, vcc
	v_add_co_u32_e32 v7, vcc, s18, v8
	v_mov_b32_e32 v2, s19
	v_addc_co_u32_e32 v8, vcc, v9, v2, vcc
	global_load_dword v9, v[7:8], off
	v_add_co_u32_e32 v7, vcc, s18, v10
	v_addc_co_u32_e32 v8, vcc, v11, v2, vcc
	global_load_dword v7, v[7:8], off
	s_waitcnt vmcnt(0)
	v_add_f32_e32 v10, v9, v7
	v_add_co_u32_e32 v7, vcc, s18, v12
	v_addc_co_u32_e32 v8, vcc, v13, v2, vcc
	global_load_dword v11, v[7:8], off
	v_add_u32_e32 v7, s7, v4
	v_ashrrev_i32_e32 v8, 31, v7
	v_lshlrev_b64 v[8:9], 2, v[7:8]
	v_mov_b32_e32 v4, s13
	v_add_co_u32_e32 v8, vcc, s12, v8
	v_addc_co_u32_e32 v9, vcc, v4, v9, vcc
	global_load_dword v4, v[8:9], off
	s_add_i32 s7, s16, s16
	global_store_dword v[5:6], v3, off
	v_add_co_u32_e32 v5, vcc, s18, v5
	v_add_u32_e32 v1, s7, v1
	v_addc_co_u32_e32 v6, vcc, v6, v2, vcc
	v_ashrrev_i32_e32 v2, 31, v1
	v_lshlrev_b64 v[8:9], 2, v[1:2]
	v_mov_b32_e32 v2, s11
	s_mul_i32 s7, s16, -3
	v_add_u32_e32 v1, s16, v1
	s_waitcnt vmcnt(1)
	v_add_f32_e32 v4, v11, v4
	v_add_f32_e32 v4, v10, v4
	global_store_dword v[5:6], v4, off
	v_add_co_u32_e32 v5, vcc, s10, v8
	v_addc_co_u32_e32 v6, vcc, v2, v9, vcc
	global_load_dword v2, v[5:6], off
	v_add_co_u32_e32 v5, vcc, s8, v8
	v_mov_b32_e32 v6, s9
	v_addc_co_u32_e32 v6, vcc, v6, v9, vcc
	global_load_dword v5, v[5:6], off
	v_mov_b32_e32 v10, s13
	s_waitcnt vmcnt(0)
	v_add_f32_e32 v2, v2, v5
	v_add_u32_e32 v5, s7, v7
	v_ashrrev_i32_e32 v6, 31, v5
	v_lshlrev_b64 v[6:7], 2, v[5:6]
	v_add_co_u32_e32 v6, vcc, s12, v6
	v_addc_co_u32_e32 v7, vcc, v10, v7, vcc
	global_load_dword v12, v[6:7], off
	v_add_u32_e32 v6, s6, v5
	v_ashrrev_i32_e32 v7, 31, v6
	v_lshlrev_b64 v[10:11], 2, v[6:7]
	v_mov_b32_e32 v5, s13
	v_add_co_u32_e32 v10, vcc, s12, v10
	v_addc_co_u32_e32 v11, vcc, v5, v11, vcc
	global_load_dword v5, v[10:11], off
	v_add_co_u32_e32 v7, vcc, s14, v8
	v_add_u32_e32 v6, s7, v6
	v_mov_b32_e32 v10, s13
	s_waitcnt vmcnt(0)
	v_add_f32_e32 v5, v12, v5
	v_add_f32_e32 v5, v2, v5
	v_mov_b32_e32 v2, s15
	v_addc_co_u32_e32 v8, vcc, v2, v9, vcc
	v_ashrrev_i32_e32 v2, 31, v1
	v_lshlrev_b64 v[1:2], 2, v[1:2]
	global_store_dword v[7:8], v5, off
	v_add_co_u32_e32 v7, vcc, s10, v1
	v_mov_b32_e32 v8, s11
	v_addc_co_u32_e32 v8, vcc, v8, v2, vcc
	global_load_dword v9, v[7:8], off
	v_add_co_u32_e32 v7, vcc, s8, v1
	v_mov_b32_e32 v8, s9
	v_addc_co_u32_e32 v8, vcc, v8, v2, vcc
	global_load_dword v7, v[7:8], off
	s_waitcnt vmcnt(0)
	v_add_f32_e32 v9, v9, v7
	v_ashrrev_i32_e32 v7, 31, v6
	v_lshlrev_b64 v[7:8], 2, v[6:7]
	v_add_u32_e32 v6, s6, v6
	v_add_co_u32_e32 v7, vcc, s12, v7
	v_addc_co_u32_e32 v8, vcc, v10, v8, vcc
	global_load_dword v8, v[7:8], off
	v_ashrrev_i32_e32 v7, 31, v6
	v_lshlrev_b64 v[6:7], 2, v[6:7]
	s_mov_b32 s6, 0x3f200000
	v_add_co_u32_e32 v6, vcc, s12, v6
	v_addc_co_u32_e32 v7, vcc, v10, v7, vcc
	global_load_dword v6, v[6:7], off
	v_add_co_u32_e32 v1, vcc, s14, v1
	v_mov_b32_e32 v7, s15
	v_addc_co_u32_e32 v2, vcc, v7, v2, vcc
	v_cmp_nlt_f32_e64 s[6:7], |v5|, s6
	s_waitcnt vmcnt(0)
	v_add_f32_e32 v6, v8, v6
	v_add_f32_e32 v6, v9, v6
	global_store_dword v[1:2], v6, off
                                        ; implicit-def: $vgpr2
	s_and_saveexec_b64 s[8:9], s[6:7]
	s_xor_b64 s[6:7], exec, s[8:9]
	s_cbranch_execz .LBB0_3
; %bb.2:
	v_add_f32_e64 v1, |v5|, |v5|
	v_mul_f32_e32 v2, 0x3fb8aa3b, v1
	s_mov_b32 s8, 0x3fb8aa3b
	v_rndne_f32_e32 v7, v2
	v_sub_f32_e32 v8, v2, v7
	v_fma_f32 v2, v1, s8, -v2
	v_fmac_f32_e32 v2, 0x32a5705f, v1
	v_add_f32_e32 v2, v8, v2
	v_exp_f32_e32 v2, v2
	v_cvt_i32_f32_e32 v7, v7
	s_mov_b32 s8, 0xc2ce8ed0
	v_cmp_ngt_f32_e32 vcc, s8, v1
	s_mov_b32 s8, 0x42b17218
	v_ldexp_f32 v2, v2, v7
	v_cndmask_b32_e32 v2, 0, v2, vcc
	v_mov_b32_e32 v7, 0x7f800000
	v_cmp_nlt_f32_e32 vcc, s8, v1
	v_cndmask_b32_e32 v1, v7, v2, vcc
	v_add_f32_e32 v1, 1.0, v1
	v_rcp_f32_e32 v1, v1
	v_fma_f32 v2, v1, -2.0, 1.0
.LBB0_3:
	s_andn2_saveexec_b64 s[6:7], s[6:7]
	s_cbranch_execz .LBB0_5
; %bb.4:
	v_mul_f32_e32 v1, v5, v5
	v_mov_b32_e32 v2, 0x3ca908c9
	v_fmac_f32_e32 v2, 0xbbbac73d, v1
	v_mov_b32_e32 v7, 0xbd5c1c4e
	v_fmac_f32_e32 v7, v1, v2
	;; [unrolled: 2-line block ×4, first 2 shown]
	v_mul_f32_e64 v2, |v5|, v7
	v_fma_f32 v2, v1, v2, |v5|
.LBB0_5:
	s_or_b64 exec, exec, s[6:7]
	v_mul_f32_e32 v1, 0xbfb8aa3b, v3
	s_mov_b32 s6, 0xbfb8aa3b
	v_rndne_f32_e32 v7, v1
	v_sub_f32_e32 v8, v1, v7
	v_fma_f32 v1, v3, s6, -v1
	v_fmac_f32_e32 v1, 0xb2a5705f, v3
	v_add_f32_e32 v1, v8, v1
	v_exp_f32_e32 v9, v1
	v_ashrrev_i32_e32 v1, 31, v0
	v_lshlrev_b64 v[0:1], 2, v[0:1]
	v_cvt_i32_f32_e32 v10, v7
	v_mov_b32_e32 v8, s1
	v_add_co_u32_e32 v7, vcc, s0, v0
	v_addc_co_u32_e32 v8, vcc, v8, v1, vcc
	global_load_dword v8, v[7:8], off
	s_mov_b32 s7, 0x42ce8ed0
	v_ldexp_f32 v7, v9, v10
	v_cmp_nlt_f32_e32 vcc, s7, v3
	s_mov_b32 s8, 0xc2b17218
	v_cndmask_b32_e32 v9, 0, v7, vcc
	v_mov_b32_e32 v7, 0x7f800000
	v_cmp_ngt_f32_e32 vcc, s8, v3
	v_cndmask_b32_e32 v3, v7, v9, vcc
	v_mul_f32_e32 v9, 0xbfb8aa3b, v4
	v_rndne_f32_e32 v10, v9
	v_sub_f32_e32 v11, v9, v10
	v_fma_f32 v9, v4, s6, -v9
	v_fmac_f32_e32 v9, 0xb2a5705f, v4
	v_add_f32_e32 v9, v11, v9
	v_exp_f32_e32 v9, v9
	v_cvt_i32_f32_e32 v10, v10
	v_cmp_nlt_f32_e32 vcc, s7, v4
	v_add_f32_e32 v11, 1.0, v3
	v_div_scale_f32 v3, s[0:1], v11, v11, 1.0
	v_ldexp_f32 v9, v9, v10
	v_cndmask_b32_e32 v9, 0, v9, vcc
	v_cmp_ngt_f32_e32 vcc, s8, v4
	v_cndmask_b32_e32 v4, v7, v9, vcc
	v_add_f32_e32 v9, 1.0, v4
	v_div_scale_f32 v4, s[0:1], v9, v9, 1.0
	v_div_scale_f32 v10, vcc, 1.0, v11, 1.0
	v_div_scale_f32 v12, s[0:1], 1.0, v9, 1.0
	s_load_dwordx4 s[8:11], s[4:5], 0x28
	v_rcp_f32_e32 v13, v3
	v_fma_f32 v15, -v3, v13, 1.0
	v_fmac_f32_e32 v13, v15, v13
	v_rcp_f32_e32 v14, v4
	v_mul_f32_e32 v15, v10, v13
	v_fma_f32 v17, -v3, v15, v10
	v_fma_f32 v16, -v4, v14, 1.0
	v_fmac_f32_e32 v14, v16, v14
	v_mul_f32_e32 v16, v12, v14
	v_fma_f32 v18, -v4, v16, v12
	v_fmac_f32_e32 v15, v17, v13
	v_fmac_f32_e32 v16, v18, v14
	v_fma_f32 v3, -v3, v15, v10
	v_fma_f32 v4, -v4, v16, v12
	v_div_fmas_f32 v10, v3, v13, v15
	s_mov_b64 vcc, s[0:1]
	v_div_fmas_f32 v12, v4, v14, v16
	s_brev_b32 s0, -2
	v_bfi_b32 v2, s0, v2, v5
	v_mov_b32_e32 v4, s3
	s_mov_b32 s1, 0x3f200000
	v_add_co_u32_e32 v3, vcc, s2, v0
	v_addc_co_u32_e32 v4, vcc, v4, v1, vcc
	v_div_fixup_f32 v5, v10, v11, 1.0
	v_mul_f32_e32 v2, v5, v2
	v_div_fixup_f32 v9, v12, v9, 1.0
	s_waitcnt vmcnt(0)
	v_fmac_f32_e32 v2, v9, v8
	v_cmp_nlt_f32_e64 s[0:1], |v2|, s1
	global_store_dword v[3:4], v2, off
                                        ; implicit-def: $vgpr3
	s_and_saveexec_b64 s[2:3], s[0:1]
	s_xor_b64 s[0:1], exec, s[2:3]
	s_cbranch_execz .LBB0_7
; %bb.6:
	v_add_f32_e64 v3, |v2|, |v2|
	v_mul_f32_e32 v4, 0x3fb8aa3b, v3
	s_mov_b32 s2, 0x3fb8aa3b
	v_rndne_f32_e32 v5, v4
	v_sub_f32_e32 v8, v4, v5
	v_fma_f32 v4, v3, s2, -v4
	v_fmac_f32_e32 v4, 0x32a5705f, v3
	v_add_f32_e32 v4, v8, v4
	v_exp_f32_e32 v4, v4
	v_cvt_i32_f32_e32 v5, v5
	s_mov_b32 s2, 0xc2ce8ed0
	v_cmp_ngt_f32_e32 vcc, s2, v3
	s_mov_b32 s2, 0x42b17218
	v_ldexp_f32 v4, v4, v5
	v_cndmask_b32_e32 v4, 0, v4, vcc
	v_cmp_nlt_f32_e32 vcc, s2, v3
	v_cndmask_b32_e32 v3, v7, v4, vcc
	v_add_f32_e32 v3, 1.0, v3
	v_rcp_f32_e32 v3, v3
	v_fma_f32 v3, v3, -2.0, 1.0
.LBB0_7:
	s_andn2_saveexec_b64 s[0:1], s[0:1]
	s_cbranch_execz .LBB0_9
; %bb.8:
	v_mul_f32_e32 v3, v2, v2
	v_mov_b32_e32 v4, 0x3ca908c9
	v_fmac_f32_e32 v4, 0xbbbac73d, v3
	v_mov_b32_e32 v5, 0xbd5c1c4e
	v_fmac_f32_e32 v5, v3, v4
	;; [unrolled: 2-line block ×4, first 2 shown]
	v_mul_f32_e64 v4, |v2|, v5
	v_fma_f32 v3, v3, v4, |v2|
.LBB0_9:
	s_or_b64 exec, exec, s[0:1]
	v_mul_f32_e32 v4, 0xbfb8aa3b, v6
	s_mov_b32 s0, 0xbfb8aa3b
	v_rndne_f32_e32 v5, v4
	v_sub_f32_e32 v7, v4, v5
	v_fma_f32 v4, v6, s0, -v4
	v_fmac_f32_e32 v4, 0xb2a5705f, v6
	v_add_f32_e32 v4, v7, v4
	v_exp_f32_e32 v4, v4
	v_cvt_i32_f32_e32 v5, v5
	s_mov_b32 s0, 0x42ce8ed0
	v_cmp_nlt_f32_e32 vcc, s0, v6
	s_mov_b32 s0, 0xc2b17218
	v_ldexp_f32 v4, v4, v5
	v_cndmask_b32_e32 v4, 0, v4, vcc
	v_mov_b32_e32 v5, 0x7f800000
	v_cmp_ngt_f32_e32 vcc, s0, v6
	v_cndmask_b32_e32 v4, v5, v4, vcc
	v_add_f32_e32 v4, 1.0, v4
	v_div_scale_f32 v5, s[0:1], v4, v4, 1.0
	v_div_scale_f32 v6, vcc, 1.0, v4, 1.0
	s_brev_b32 s0, -2
	v_rcp_f32_e32 v7, v5
	v_fma_f32 v8, -v5, v7, 1.0
	v_fmac_f32_e32 v7, v8, v7
	v_mul_f32_e32 v8, v6, v7
	v_fma_f32 v9, -v5, v8, v6
	v_fmac_f32_e32 v8, v9, v7
	v_fma_f32 v5, -v5, v8, v6
	v_div_fmas_f32 v5, v5, v7, v8
	s_waitcnt lgkmcnt(0)
	v_mov_b32_e32 v6, s9
	v_bfi_b32 v8, s0, v3, v2
	v_add_co_u32_e32 v2, vcc, s8, v0
	v_addc_co_u32_e32 v3, vcc, v6, v1, vcc
	v_mov_b32_e32 v7, s11
	v_add_co_u32_e32 v0, vcc, s10, v0
	v_addc_co_u32_e32 v1, vcc, v7, v1, vcc
	v_div_fixup_f32 v4, v5, v4, 1.0
	v_mul_f32_e32 v4, v4, v8
	global_store_dword v[2:3], v4, off
	global_store_dword v[0:1], v4, off
.LBB0_10:
	s_endpgm
	.section	.rodata,"a",@progbits
	.p2align	6, 0x0
	.amdhsa_kernel _Z11elementwiseiiPKfS0_S0_PfS1_S1_S0_S1_
		.amdhsa_group_segment_fixed_size 0
		.amdhsa_private_segment_fixed_size 0
		.amdhsa_kernarg_size 328
		.amdhsa_user_sgpr_count 6
		.amdhsa_user_sgpr_private_segment_buffer 1
		.amdhsa_user_sgpr_dispatch_ptr 0
		.amdhsa_user_sgpr_queue_ptr 0
		.amdhsa_user_sgpr_kernarg_segment_ptr 1
		.amdhsa_user_sgpr_dispatch_id 0
		.amdhsa_user_sgpr_flat_scratch_init 0
		.amdhsa_user_sgpr_private_segment_size 0
		.amdhsa_uses_dynamic_stack 0
		.amdhsa_system_sgpr_private_segment_wavefront_offset 0
		.amdhsa_system_sgpr_workgroup_id_x 1
		.amdhsa_system_sgpr_workgroup_id_y 0
		.amdhsa_system_sgpr_workgroup_id_z 0
		.amdhsa_system_sgpr_workgroup_info 0
		.amdhsa_system_vgpr_workitem_id 0
		.amdhsa_next_free_vgpr 19
		.amdhsa_next_free_sgpr 20
		.amdhsa_reserve_vcc 1
		.amdhsa_reserve_flat_scratch 0
		.amdhsa_float_round_mode_32 0
		.amdhsa_float_round_mode_16_64 0
		.amdhsa_float_denorm_mode_32 3
		.amdhsa_float_denorm_mode_16_64 3
		.amdhsa_dx10_clamp 1
		.amdhsa_ieee_mode 1
		.amdhsa_fp16_overflow 0
		.amdhsa_exception_fp_ieee_invalid_op 0
		.amdhsa_exception_fp_denorm_src 0
		.amdhsa_exception_fp_ieee_div_zero 0
		.amdhsa_exception_fp_ieee_overflow 0
		.amdhsa_exception_fp_ieee_underflow 0
		.amdhsa_exception_fp_ieee_inexact 0
		.amdhsa_exception_int_div_zero 0
	.end_amdhsa_kernel
	.text
.Lfunc_end0:
	.size	_Z11elementwiseiiPKfS0_S0_PfS1_S1_S0_S1_, .Lfunc_end0-_Z11elementwiseiiPKfS0_S0_PfS1_S1_S0_S1_
                                        ; -- End function
	.set _Z11elementwiseiiPKfS0_S0_PfS1_S1_S0_S1_.num_vgpr, 19
	.set _Z11elementwiseiiPKfS0_S0_PfS1_S1_S0_S1_.num_agpr, 0
	.set _Z11elementwiseiiPKfS0_S0_PfS1_S1_S0_S1_.numbered_sgpr, 20
	.set _Z11elementwiseiiPKfS0_S0_PfS1_S1_S0_S1_.num_named_barrier, 0
	.set _Z11elementwiseiiPKfS0_S0_PfS1_S1_S0_S1_.private_seg_size, 0
	.set _Z11elementwiseiiPKfS0_S0_PfS1_S1_S0_S1_.uses_vcc, 1
	.set _Z11elementwiseiiPKfS0_S0_PfS1_S1_S0_S1_.uses_flat_scratch, 0
	.set _Z11elementwiseiiPKfS0_S0_PfS1_S1_S0_S1_.has_dyn_sized_stack, 0
	.set _Z11elementwiseiiPKfS0_S0_PfS1_S1_S0_S1_.has_recursion, 0
	.set _Z11elementwiseiiPKfS0_S0_PfS1_S1_S0_S1_.has_indirect_call, 0
	.section	.AMDGPU.csdata,"",@progbits
; Kernel info:
; codeLenInByte = 1960
; TotalNumSgprs: 24
; NumVgprs: 19
; ScratchSize: 0
; MemoryBound: 0
; FloatMode: 240
; IeeeMode: 1
; LDSByteSize: 0 bytes/workgroup (compile time only)
; SGPRBlocks: 2
; VGPRBlocks: 4
; NumSGPRsForWavesPerEU: 24
; NumVGPRsForWavesPerEU: 19
; Occupancy: 10
; WaveLimiterHint : 0
; COMPUTE_PGM_RSRC2:SCRATCH_EN: 0
; COMPUTE_PGM_RSRC2:USER_SGPR: 6
; COMPUTE_PGM_RSRC2:TRAP_HANDLER: 0
; COMPUTE_PGM_RSRC2:TGID_X_EN: 1
; COMPUTE_PGM_RSRC2:TGID_Y_EN: 0
; COMPUTE_PGM_RSRC2:TGID_Z_EN: 0
; COMPUTE_PGM_RSRC2:TIDIG_COMP_CNT: 0
	.text
	.protected	_Z4initPfi              ; -- Begin function _Z4initPfi
	.globl	_Z4initPfi
	.p2align	8
	.type	_Z4initPfi,@function
_Z4initPfi:                             ; @_Z4initPfi
; %bb.0:
	s_load_dword s1, s[4:5], 0x1c
	s_load_dword s0, s[4:5], 0x8
	s_waitcnt lgkmcnt(0)
	s_and_b32 s1, s1, 0xffff
	s_mul_i32 s6, s6, s1
	v_add_u32_e32 v0, s6, v0
	v_cmp_gt_i32_e32 vcc, s0, v0
	s_and_saveexec_b64 s[2:3], vcc
	s_cbranch_execz .LBB1_2
; %bb.1:
	v_xor_b32_e32 v1, s0, v0
	s_mov_b32 s0, 0x1984a2d
	v_mad_u64_u32 v[1:2], s[0:1], v1, s0, 1
	s_load_dwordx2 s[0:1], s[4:5], 0x0
	v_and_b32_e32 v1, 0x7fffffff, v1
	v_cvt_f32_u32_e32 v2, v1
	v_ashrrev_i32_e32 v1, 31, v0
	v_lshlrev_b64 v[0:1], 2, v[0:1]
	s_waitcnt lgkmcnt(0)
	v_mov_b32_e32 v3, s1
	v_add_co_u32_e32 v0, vcc, s0, v0
	v_mul_f32_e32 v2, 0x30000000, v2
	v_addc_co_u32_e32 v1, vcc, v3, v1, vcc
	global_store_dword v[0:1], v2, off
.LBB1_2:
	s_endpgm
	.section	.rodata,"a",@progbits
	.p2align	6, 0x0
	.amdhsa_kernel _Z4initPfi
		.amdhsa_group_segment_fixed_size 0
		.amdhsa_private_segment_fixed_size 0
		.amdhsa_kernarg_size 272
		.amdhsa_user_sgpr_count 6
		.amdhsa_user_sgpr_private_segment_buffer 1
		.amdhsa_user_sgpr_dispatch_ptr 0
		.amdhsa_user_sgpr_queue_ptr 0
		.amdhsa_user_sgpr_kernarg_segment_ptr 1
		.amdhsa_user_sgpr_dispatch_id 0
		.amdhsa_user_sgpr_flat_scratch_init 0
		.amdhsa_user_sgpr_private_segment_size 0
		.amdhsa_uses_dynamic_stack 0
		.amdhsa_system_sgpr_private_segment_wavefront_offset 0
		.amdhsa_system_sgpr_workgroup_id_x 1
		.amdhsa_system_sgpr_workgroup_id_y 0
		.amdhsa_system_sgpr_workgroup_id_z 0
		.amdhsa_system_sgpr_workgroup_info 0
		.amdhsa_system_vgpr_workitem_id 0
		.amdhsa_next_free_vgpr 4
		.amdhsa_next_free_sgpr 7
		.amdhsa_reserve_vcc 1
		.amdhsa_reserve_flat_scratch 0
		.amdhsa_float_round_mode_32 0
		.amdhsa_float_round_mode_16_64 0
		.amdhsa_float_denorm_mode_32 3
		.amdhsa_float_denorm_mode_16_64 3
		.amdhsa_dx10_clamp 1
		.amdhsa_ieee_mode 1
		.amdhsa_fp16_overflow 0
		.amdhsa_exception_fp_ieee_invalid_op 0
		.amdhsa_exception_fp_denorm_src 0
		.amdhsa_exception_fp_ieee_div_zero 0
		.amdhsa_exception_fp_ieee_overflow 0
		.amdhsa_exception_fp_ieee_underflow 0
		.amdhsa_exception_fp_ieee_inexact 0
		.amdhsa_exception_int_div_zero 0
	.end_amdhsa_kernel
	.text
.Lfunc_end1:
	.size	_Z4initPfi, .Lfunc_end1-_Z4initPfi
                                        ; -- End function
	.set _Z4initPfi.num_vgpr, 4
	.set _Z4initPfi.num_agpr, 0
	.set _Z4initPfi.numbered_sgpr, 7
	.set _Z4initPfi.num_named_barrier, 0
	.set _Z4initPfi.private_seg_size, 0
	.set _Z4initPfi.uses_vcc, 1
	.set _Z4initPfi.uses_flat_scratch, 0
	.set _Z4initPfi.has_dyn_sized_stack, 0
	.set _Z4initPfi.has_recursion, 0
	.set _Z4initPfi.has_indirect_call, 0
	.section	.AMDGPU.csdata,"",@progbits
; Kernel info:
; codeLenInByte = 136
; TotalNumSgprs: 11
; NumVgprs: 4
; ScratchSize: 0
; MemoryBound: 0
; FloatMode: 240
; IeeeMode: 1
; LDSByteSize: 0 bytes/workgroup (compile time only)
; SGPRBlocks: 1
; VGPRBlocks: 0
; NumSGPRsForWavesPerEU: 11
; NumVGPRsForWavesPerEU: 4
; Occupancy: 10
; WaveLimiterHint : 0
; COMPUTE_PGM_RSRC2:SCRATCH_EN: 0
; COMPUTE_PGM_RSRC2:USER_SGPR: 6
; COMPUTE_PGM_RSRC2:TRAP_HANDLER: 0
; COMPUTE_PGM_RSRC2:TGID_X_EN: 1
; COMPUTE_PGM_RSRC2:TGID_Y_EN: 0
; COMPUTE_PGM_RSRC2:TGID_Z_EN: 0
; COMPUTE_PGM_RSRC2:TIDIG_COMP_CNT: 0
	.section	.AMDGPU.gpr_maximums,"",@progbits
	.set amdgpu.max_num_vgpr, 0
	.set amdgpu.max_num_agpr, 0
	.set amdgpu.max_num_sgpr, 0
	.section	.AMDGPU.csdata,"",@progbits
	.type	__hip_cuid_287fdaef86649541,@object ; @__hip_cuid_287fdaef86649541
	.section	.bss,"aw",@nobits
	.globl	__hip_cuid_287fdaef86649541
__hip_cuid_287fdaef86649541:
	.byte	0                               ; 0x0
	.size	__hip_cuid_287fdaef86649541, 1

	.ident	"AMD clang version 22.0.0git (https://github.com/RadeonOpenCompute/llvm-project roc-7.2.4 26084 f58b06dce1f9c15707c5f808fd002e18c2accf7e)"
	.section	".note.GNU-stack","",@progbits
	.addrsig
	.addrsig_sym __hip_cuid_287fdaef86649541
	.amdgpu_metadata
---
amdhsa.kernels:
  - .args:
      - .offset:         0
        .size:           4
        .value_kind:     by_value
      - .offset:         4
        .size:           4
        .value_kind:     by_value
      - .actual_access:  read_only
        .address_space:  global
        .offset:         8
        .size:           8
        .value_kind:     global_buffer
      - .actual_access:  read_only
        .address_space:  global
        .offset:         16
        .size:           8
        .value_kind:     global_buffer
      - .actual_access:  read_only
        .address_space:  global
        .offset:         24
        .size:           8
        .value_kind:     global_buffer
      - .actual_access:  write_only
        .address_space:  global
        .offset:         32
        .size:           8
        .value_kind:     global_buffer
      - .actual_access:  write_only
        .address_space:  global
        .offset:         40
        .size:           8
        .value_kind:     global_buffer
      - .actual_access:  write_only
        .address_space:  global
        .offset:         48
        .size:           8
        .value_kind:     global_buffer
      - .actual_access:  read_only
        .address_space:  global
        .offset:         56
        .size:           8
        .value_kind:     global_buffer
      - .actual_access:  write_only
        .address_space:  global
        .offset:         64
        .size:           8
        .value_kind:     global_buffer
      - .offset:         72
        .size:           4
        .value_kind:     hidden_block_count_x
      - .offset:         76
        .size:           4
        .value_kind:     hidden_block_count_y
      - .offset:         80
        .size:           4
        .value_kind:     hidden_block_count_z
      - .offset:         84
        .size:           2
        .value_kind:     hidden_group_size_x
      - .offset:         86
        .size:           2
        .value_kind:     hidden_group_size_y
      - .offset:         88
        .size:           2
        .value_kind:     hidden_group_size_z
      - .offset:         90
        .size:           2
        .value_kind:     hidden_remainder_x
      - .offset:         92
        .size:           2
        .value_kind:     hidden_remainder_y
      - .offset:         94
        .size:           2
        .value_kind:     hidden_remainder_z
      - .offset:         112
        .size:           8
        .value_kind:     hidden_global_offset_x
      - .offset:         120
        .size:           8
        .value_kind:     hidden_global_offset_y
      - .offset:         128
        .size:           8
        .value_kind:     hidden_global_offset_z
      - .offset:         136
        .size:           2
        .value_kind:     hidden_grid_dims
    .group_segment_fixed_size: 0
    .kernarg_segment_align: 8
    .kernarg_segment_size: 328
    .language:       OpenCL C
    .language_version:
      - 2
      - 0
    .max_flat_workgroup_size: 1024
    .name:           _Z11elementwiseiiPKfS0_S0_PfS1_S1_S0_S1_
    .private_segment_fixed_size: 0
    .sgpr_count:     24
    .sgpr_spill_count: 0
    .symbol:         _Z11elementwiseiiPKfS0_S0_PfS1_S1_S0_S1_.kd
    .uniform_work_group_size: 1
    .uses_dynamic_stack: false
    .vgpr_count:     19
    .vgpr_spill_count: 0
    .wavefront_size: 64
  - .args:
      - .address_space:  global
        .offset:         0
        .size:           8
        .value_kind:     global_buffer
      - .offset:         8
        .size:           4
        .value_kind:     by_value
      - .offset:         16
        .size:           4
        .value_kind:     hidden_block_count_x
      - .offset:         20
        .size:           4
        .value_kind:     hidden_block_count_y
      - .offset:         24
        .size:           4
        .value_kind:     hidden_block_count_z
      - .offset:         28
        .size:           2
        .value_kind:     hidden_group_size_x
      - .offset:         30
        .size:           2
        .value_kind:     hidden_group_size_y
      - .offset:         32
        .size:           2
        .value_kind:     hidden_group_size_z
      - .offset:         34
        .size:           2
        .value_kind:     hidden_remainder_x
      - .offset:         36
        .size:           2
        .value_kind:     hidden_remainder_y
      - .offset:         38
        .size:           2
        .value_kind:     hidden_remainder_z
      - .offset:         56
        .size:           8
        .value_kind:     hidden_global_offset_x
      - .offset:         64
        .size:           8
        .value_kind:     hidden_global_offset_y
      - .offset:         72
        .size:           8
        .value_kind:     hidden_global_offset_z
      - .offset:         80
        .size:           2
        .value_kind:     hidden_grid_dims
    .group_segment_fixed_size: 0
    .kernarg_segment_align: 8
    .kernarg_segment_size: 272
    .language:       OpenCL C
    .language_version:
      - 2
      - 0
    .max_flat_workgroup_size: 1024
    .name:           _Z4initPfi
    .private_segment_fixed_size: 0
    .sgpr_count:     11
    .sgpr_spill_count: 0
    .symbol:         _Z4initPfi.kd
    .uniform_work_group_size: 1
    .uses_dynamic_stack: false
    .vgpr_count:     4
    .vgpr_spill_count: 0
    .wavefront_size: 64
amdhsa.target:   amdgcn-amd-amdhsa--gfx906
amdhsa.version:
  - 1
  - 2
...

	.end_amdgpu_metadata
